;; amdgpu-corpus repo=ROCm/rocFFT kind=compiled arch=gfx950 opt=O3
	.text
	.amdgcn_target "amdgcn-amd-amdhsa--gfx950"
	.amdhsa_code_object_version 6
	.protected	fft_rtc_fwd_len272_factors_16_17_wgs_119_tpt_17_halfLds_half_op_CI_CI_sbrr_dirReg ; -- Begin function fft_rtc_fwd_len272_factors_16_17_wgs_119_tpt_17_halfLds_half_op_CI_CI_sbrr_dirReg
	.globl	fft_rtc_fwd_len272_factors_16_17_wgs_119_tpt_17_halfLds_half_op_CI_CI_sbrr_dirReg
	.p2align	8
	.type	fft_rtc_fwd_len272_factors_16_17_wgs_119_tpt_17_halfLds_half_op_CI_CI_sbrr_dirReg,@function
fft_rtc_fwd_len272_factors_16_17_wgs_119_tpt_17_halfLds_half_op_CI_CI_sbrr_dirReg: ; @fft_rtc_fwd_len272_factors_16_17_wgs_119_tpt_17_halfLds_half_op_CI_CI_sbrr_dirReg
; %bb.0:
	s_load_dwordx4 s[12:15], s[0:1], 0x18
	s_load_dwordx4 s[8:11], s[0:1], 0x0
	;; [unrolled: 1-line block ×3, first 2 shown]
	v_mul_u32_u24_e32 v1, 0xf10, v0
	v_lshrrev_b32_e32 v2, 16, v1
	s_waitcnt lgkmcnt(0)
	s_load_dwordx2 s[18:19], s[12:13], 0x0
	s_load_dwordx2 s[16:17], s[14:15], 0x0
	v_mad_u64_u32 v[2:3], s[2:3], s2, 7, v[2:3]
	v_mov_b32_e32 v6, 0
	v_mov_b32_e32 v3, v6
	v_cmp_lt_u64_e64 s[2:3], s[10:11], 2
	v_mov_b64_e32 v[4:5], 0
	s_and_b64 vcc, exec, s[2:3]
	v_mov_b64_e32 v[8:9], v[4:5]
	v_mov_b64_e32 v[10:11], v[2:3]
	s_cbranch_vccnz .LBB0_8
; %bb.1:
	s_load_dwordx2 s[2:3], s[0:1], 0x10
	s_add_u32 s20, s14, 8
	s_addc_u32 s21, s15, 0
	s_add_u32 s22, s12, 8
	s_addc_u32 s23, s13, 0
	s_waitcnt lgkmcnt(0)
	s_add_u32 s24, s2, 8
	v_mov_b64_e32 v[4:5], 0
	s_addc_u32 s25, s3, 0
	s_mov_b64 s[26:27], 1
	v_mov_b64_e32 v[8:9], v[4:5]
	v_mov_b64_e32 v[12:13], v[2:3]
.LBB0_2:                                ; =>This Inner Loop Header: Depth=1
	s_load_dwordx2 s[28:29], s[24:25], 0x0
                                        ; implicit-def: $vgpr10_vgpr11
	s_waitcnt lgkmcnt(0)
	v_or_b32_e32 v7, s29, v13
	v_cmp_ne_u64_e32 vcc, 0, v[6:7]
	s_and_saveexec_b64 s[2:3], vcc
	s_xor_b64 s[30:31], exec, s[2:3]
	s_cbranch_execz .LBB0_4
; %bb.3:                                ;   in Loop: Header=BB0_2 Depth=1
	v_cvt_f32_u32_e32 v1, s28
	v_cvt_f32_u32_e32 v3, s29
	s_sub_u32 s2, 0, s28
	s_subb_u32 s3, 0, s29
	v_fmac_f32_e32 v1, 0x4f800000, v3
	v_rcp_f32_e32 v1, v1
	s_nop 0
	v_mul_f32_e32 v1, 0x5f7ffffc, v1
	v_mul_f32_e32 v3, 0x2f800000, v1
	v_trunc_f32_e32 v3, v3
	v_fmac_f32_e32 v1, 0xcf800000, v3
	v_cvt_u32_f32_e32 v3, v3
	v_cvt_u32_f32_e32 v1, v1
	v_mul_lo_u32 v7, s2, v3
	v_mul_hi_u32 v10, s2, v1
	v_mul_lo_u32 v11, s3, v1
	v_add_u32_e32 v7, v10, v7
	v_mul_lo_u32 v16, s2, v1
	v_add_u32_e32 v7, v7, v11
	v_mul_hi_u32 v10, v1, v16
	v_mul_hi_u32 v15, v1, v7
	v_mul_lo_u32 v14, v1, v7
	v_mov_b32_e32 v11, v6
	v_lshl_add_u64 v[10:11], v[10:11], 0, v[14:15]
	v_mul_hi_u32 v15, v3, v16
	v_mul_lo_u32 v16, v3, v16
	v_add_co_u32_e32 v10, vcc, v10, v16
	v_mul_hi_u32 v14, v3, v7
	s_nop 0
	v_addc_co_u32_e32 v10, vcc, v11, v15, vcc
	v_mov_b32_e32 v11, v6
	s_nop 0
	v_addc_co_u32_e32 v15, vcc, 0, v14, vcc
	v_mul_lo_u32 v14, v3, v7
	v_lshl_add_u64 v[10:11], v[10:11], 0, v[14:15]
	v_add_co_u32_e32 v1, vcc, v1, v10
	v_mul_hi_u32 v10, s2, v1
	s_nop 0
	v_addc_co_u32_e32 v3, vcc, v3, v11, vcc
	v_mul_lo_u32 v7, s2, v3
	v_add_u32_e32 v7, v10, v7
	v_mul_lo_u32 v10, s3, v1
	v_add_u32_e32 v7, v7, v10
	v_mul_lo_u32 v14, s2, v1
	v_mul_hi_u32 v17, v3, v14
	v_mul_lo_u32 v18, v3, v14
	v_mul_hi_u32 v11, v1, v7
	v_mul_lo_u32 v10, v1, v7
	v_mul_hi_u32 v14, v1, v14
	v_mov_b32_e32 v15, v6
	v_lshl_add_u64 v[10:11], v[14:15], 0, v[10:11]
	v_add_co_u32_e32 v10, vcc, v10, v18
	v_mul_hi_u32 v16, v3, v7
	s_nop 0
	v_addc_co_u32_e32 v10, vcc, v11, v17, vcc
	v_mul_lo_u32 v14, v3, v7
	s_nop 0
	v_addc_co_u32_e32 v15, vcc, 0, v16, vcc
	v_mov_b32_e32 v11, v6
	v_lshl_add_u64 v[10:11], v[10:11], 0, v[14:15]
	v_add_co_u32_e32 v1, vcc, v1, v10
	v_mul_hi_u32 v14, v12, v1
	s_nop 0
	v_addc_co_u32_e32 v3, vcc, v3, v11, vcc
	v_mad_u64_u32 v[10:11], s[2:3], v12, v3, 0
	v_mov_b32_e32 v15, v6
	v_lshl_add_u64 v[10:11], v[14:15], 0, v[10:11]
	v_mad_u64_u32 v[16:17], s[2:3], v13, v1, 0
	v_add_co_u32_e32 v1, vcc, v10, v16
	v_mad_u64_u32 v[14:15], s[2:3], v13, v3, 0
	s_nop 0
	v_addc_co_u32_e32 v10, vcc, v11, v17, vcc
	v_mov_b32_e32 v11, v6
	s_nop 0
	v_addc_co_u32_e32 v15, vcc, 0, v15, vcc
	v_lshl_add_u64 v[10:11], v[10:11], 0, v[14:15]
	v_mul_lo_u32 v1, s29, v10
	v_mul_lo_u32 v3, s28, v11
	v_mad_u64_u32 v[14:15], s[2:3], s28, v10, 0
	v_add3_u32 v1, v15, v3, v1
	v_sub_u32_e32 v3, v13, v1
	v_mov_b32_e32 v7, s29
	v_sub_co_u32_e32 v18, vcc, v12, v14
	v_lshl_add_u64 v[16:17], v[10:11], 0, 1
	s_nop 0
	v_subb_co_u32_e64 v3, s[2:3], v3, v7, vcc
	v_subrev_co_u32_e64 v7, s[2:3], s28, v18
	v_subb_co_u32_e32 v1, vcc, v13, v1, vcc
	s_nop 0
	v_subbrev_co_u32_e64 v3, s[2:3], 0, v3, s[2:3]
	v_cmp_le_u32_e64 s[2:3], s29, v3
	v_cmp_le_u32_e32 vcc, s29, v1
	s_nop 0
	v_cndmask_b32_e64 v14, 0, -1, s[2:3]
	v_cmp_le_u32_e64 s[2:3], s28, v7
	s_nop 1
	v_cndmask_b32_e64 v7, 0, -1, s[2:3]
	v_cmp_eq_u32_e64 s[2:3], s29, v3
	s_nop 1
	v_cndmask_b32_e64 v3, v14, v7, s[2:3]
	v_lshl_add_u64 v[14:15], v[10:11], 0, 2
	v_cmp_ne_u32_e64 s[2:3], 0, v3
	v_cndmask_b32_e64 v7, 0, -1, vcc
	v_cmp_le_u32_e32 vcc, s28, v18
	v_cndmask_b32_e64 v3, v17, v15, s[2:3]
	s_nop 0
	v_cndmask_b32_e64 v15, 0, -1, vcc
	v_cmp_eq_u32_e32 vcc, s29, v1
	s_nop 1
	v_cndmask_b32_e32 v1, v7, v15, vcc
	v_cmp_ne_u32_e32 vcc, 0, v1
	v_cndmask_b32_e64 v1, v16, v14, s[2:3]
	s_nop 0
	v_cndmask_b32_e32 v11, v11, v3, vcc
	v_cndmask_b32_e32 v10, v10, v1, vcc
.LBB0_4:                                ;   in Loop: Header=BB0_2 Depth=1
	s_andn2_saveexec_b64 s[2:3], s[30:31]
	s_cbranch_execz .LBB0_6
; %bb.5:                                ;   in Loop: Header=BB0_2 Depth=1
	v_cvt_f32_u32_e32 v1, s28
	s_sub_i32 s30, 0, s28
	v_mov_b32_e32 v11, v6
	v_rcp_iflag_f32_e32 v1, v1
	s_nop 0
	v_mul_f32_e32 v1, 0x4f7ffffe, v1
	v_cvt_u32_f32_e32 v1, v1
	v_mul_lo_u32 v3, s30, v1
	v_mul_hi_u32 v3, v1, v3
	v_add_u32_e32 v1, v1, v3
	v_mul_hi_u32 v1, v12, v1
	v_mul_lo_u32 v3, v1, s28
	v_sub_u32_e32 v3, v12, v3
	v_add_u32_e32 v7, 1, v1
	v_subrev_u32_e32 v10, s28, v3
	v_cmp_le_u32_e32 vcc, s28, v3
	s_nop 1
	v_cndmask_b32_e32 v3, v3, v10, vcc
	v_cndmask_b32_e32 v1, v1, v7, vcc
	v_add_u32_e32 v7, 1, v1
	v_cmp_le_u32_e32 vcc, s28, v3
	s_nop 1
	v_cndmask_b32_e32 v10, v1, v7, vcc
.LBB0_6:                                ;   in Loop: Header=BB0_2 Depth=1
	s_or_b64 exec, exec, s[2:3]
	v_mad_u64_u32 v[14:15], s[2:3], v10, s28, 0
	s_load_dwordx2 s[2:3], s[22:23], 0x0
	s_add_u32 s26, s26, 1
	v_mul_lo_u32 v1, v11, s28
	v_mul_lo_u32 v3, v10, s29
	s_load_dwordx2 s[28:29], s[20:21], 0x0
	s_addc_u32 s27, s27, 0
	v_add3_u32 v1, v15, v3, v1
	v_sub_co_u32_e32 v3, vcc, v12, v14
	s_add_u32 s20, s20, 8
	s_nop 0
	v_subb_co_u32_e32 v1, vcc, v13, v1, vcc
	s_addc_u32 s21, s21, 0
	s_waitcnt lgkmcnt(0)
	v_mul_lo_u32 v7, s2, v1
	v_mul_lo_u32 v12, s3, v3
	v_mad_u64_u32 v[4:5], s[2:3], s2, v3, v[4:5]
	s_add_u32 s22, s22, 8
	v_add3_u32 v5, v12, v5, v7
	s_addc_u32 s23, s23, 0
	v_mov_b64_e32 v[12:13], s[10:11]
	v_mul_lo_u32 v1, s28, v1
	v_mul_lo_u32 v7, s29, v3
	v_mad_u64_u32 v[8:9], s[2:3], s28, v3, v[8:9]
	s_add_u32 s24, s24, 8
	v_cmp_ge_u64_e32 vcc, s[26:27], v[12:13]
	v_add3_u32 v9, v7, v9, v1
	s_addc_u32 s25, s25, 0
	s_cbranch_vccnz .LBB0_8
; %bb.7:                                ;   in Loop: Header=BB0_2 Depth=1
	v_mov_b64_e32 v[12:13], v[10:11]
	s_branch .LBB0_2
.LBB0_8:
	s_load_dwordx2 s[0:1], s[0:1], 0x28
	s_lshl_b64 s[10:11], s[10:11], 3
	s_add_u32 s2, s14, s10
	s_addc_u32 s3, s15, s11
                                        ; implicit-def: $sgpr14
                                        ; implicit-def: $vgpr12
	s_waitcnt lgkmcnt(0)
	v_cmp_gt_u64_e32 vcc, s[0:1], v[10:11]
	v_cmp_le_u64_e64 s[0:1], s[0:1], v[10:11]
	s_and_saveexec_b64 s[20:21], s[0:1]
	s_xor_b64 s[0:1], exec, s[20:21]
; %bb.9:
	s_mov_b32 s14, 0xf0f0f10
	v_mul_hi_u32 v1, v0, s14
	v_mul_u32_u24_e32 v1, 17, v1
	v_sub_u32_e32 v12, v0, v1
	s_mov_b32 s14, 0
                                        ; implicit-def: $vgpr0
                                        ; implicit-def: $vgpr4_vgpr5
; %bb.10:
	s_or_saveexec_b64 s[0:1], s[0:1]
	v_mov_b32_e32 v1, s14
	v_mov_b32_e32 v13, s14
	;; [unrolled: 1-line block ×8, first 2 shown]
                                        ; implicit-def: $vgpr3
                                        ; implicit-def: $vgpr23
                                        ; implicit-def: $vgpr25
                                        ; implicit-def: $vgpr24
                                        ; implicit-def: $vgpr22
                                        ; implicit-def: $vgpr21
                                        ; implicit-def: $vgpr19
                                        ; implicit-def: $vgpr17
                                        ; implicit-def: $vgpr20
	s_xor_b64 exec, exec, s[0:1]
	s_cbranch_execz .LBB0_12
; %bb.11:
	s_add_u32 s10, s12, s10
	s_addc_u32 s11, s13, s11
	s_load_dwordx2 s[10:11], s[10:11], 0x0
	s_mov_b32 s12, 0xf0f0f10
	s_waitcnt lgkmcnt(0)
	v_mul_lo_u32 v1, s11, v10
	v_mul_lo_u32 v3, s10, v11
	v_mad_u64_u32 v[6:7], s[10:11], s10, v10, 0
	v_add3_u32 v7, v7, v3, v1
	v_mul_hi_u32 v1, v0, s12
	v_mul_u32_u24_e32 v1, 17, v1
	v_sub_u32_e32 v12, v0, v1
	v_mad_u64_u32 v[0:1], s[10:11], s18, v12, 0
	v_mov_b32_e32 v14, v1
	v_mad_u64_u32 v[14:15], s[10:11], s19, v12, v[14:15]
	v_lshl_add_u64 v[6:7], v[6:7], 2, s[4:5]
	v_mov_b32_e32 v1, v14
	v_lshl_add_u64 v[4:5], v[4:5], 2, v[6:7]
	v_add_u32_e32 v3, 17, v12
	v_lshl_add_u64 v[18:19], v[0:1], 2, v[4:5]
	v_mad_u64_u32 v[0:1], s[4:5], s18, v3, 0
	v_mov_b32_e32 v6, v1
	v_mad_u64_u32 v[6:7], s[4:5], s19, v3, v[6:7]
	v_mov_b32_e32 v1, v6
	v_add_u32_e32 v3, 34, v12
	v_lshl_add_u64 v[20:21], v[0:1], 2, v[4:5]
	v_mad_u64_u32 v[0:1], s[4:5], s18, v3, 0
	v_mov_b32_e32 v6, v1
	v_mad_u64_u32 v[6:7], s[4:5], s19, v3, v[6:7]
	v_mov_b32_e32 v1, v6
	;; [unrolled: 6-line block ×15, first 2 shown]
	v_lshl_add_u64 v[4:5], v[0:1], 2, v[4:5]
	global_load_dword v0, v[34:35], off
	global_load_dword v17, v[36:37], off
	;; [unrolled: 1-line block ×15, first 2 shown]
                                        ; kill: killed $vgpr18_vgpr19
                                        ; kill: killed $vgpr4_vgpr5
                                        ; kill: killed $vgpr30_vgpr31
                                        ; kill: killed $vgpr22_vgpr23
                                        ; kill: killed $vgpr38_vgpr39
                                        ; kill: killed $vgpr28_vgpr29
                                        ; kill: killed $vgpr20_vgpr21
                                        ; kill: killed $vgpr40_vgpr41
                                        ; kill: killed $vgpr42_vgpr43
                                        ; kill: killed $vgpr26_vgpr27
                                        ; kill: killed $vgpr34_vgpr35
                                        ; kill: killed $vgpr36_vgpr37
                                        ; kill: killed $vgpr44_vgpr45
                                        ; kill: killed $vgpr24_vgpr25
                                        ; kill: killed $vgpr46_vgpr47
	global_load_dword v18, v[32:33], off
	s_mov_b32 s4, 0x5040100
	s_waitcnt vmcnt(15)
	v_lshrrev_b32_e32 v3, 16, v0
	s_waitcnt vmcnt(14)
	v_perm_b32 v25, v17, v0, s4
	v_lshrrev_b32_e32 v23, 16, v17
	s_waitcnt vmcnt(12)
	v_perm_b32 v22, v49, v48, s4
	s_waitcnt vmcnt(10)
	v_perm_b32 v24, v51, v50, s4
	;; [unrolled: 2-line block ×3, first 2 shown]
	s_mov_b32 s4, 0x7060302
	v_perm_b32 v19, v51, v50, s4
	v_perm_b32 v17, v53, v52, s4
	;; [unrolled: 1-line block ×3, first 2 shown]
.LBB0_12:
	s_or_b64 exec, exec, s[0:1]
	s_mov_b32 s0, 0x24924925
	v_mul_hi_u32 v0, v2, s0
	v_sub_u32_e32 v4, v2, v0
	v_lshrrev_b32_e32 v4, 1, v4
	v_add_u32_e32 v0, v4, v0
	v_lshrrev_b32_e32 v0, 2, v0
	v_mul_lo_u32 v0, v0, 7
	s_mov_b32 s0, 0x5040100
	v_sub_u32_e32 v0, v2, v0
	s_waitcnt vmcnt(2)
	v_perm_b32 v4, v14, v6, s0
	v_mul_u32_u24_e32 v34, 0x110, v0
	v_perm_b32 v0, v13, v1, s0
	v_pk_add_f16 v2, v4, v24 neg_lo:[0,1] neg_hi:[0,1]
	v_perm_b32 v5, v16, v7, s0
	s_waitcnt vmcnt(0)
	v_perm_b32 v24, v18, v15, s0
	v_pk_add_f16 v25, v0, v25 neg_lo:[0,1] neg_hi:[0,1]
	v_pk_add_f16 v22, v5, v22 neg_lo:[0,1] neg_hi:[0,1]
	;; [unrolled: 1-line block ×3, first 2 shown]
	v_pk_fma_f16 v0, v0, 2.0, v25 op_sel_hi:[1,0,1] neg_lo:[0,0,1] neg_hi:[0,0,1]
	v_pk_fma_f16 v4, v4, 2.0, v2 op_sel_hi:[1,0,1] neg_lo:[0,0,1] neg_hi:[0,0,1]
	v_pk_fma_f16 v5, v5, 2.0, v22 op_sel_hi:[1,0,1] neg_lo:[0,0,1] neg_hi:[0,0,1]
	v_pk_fma_f16 v24, v24, 2.0, v21 op_sel_hi:[1,0,1] neg_lo:[0,0,1] neg_hi:[0,0,1]
	v_pk_add_f16 v26, v0, v4 neg_lo:[0,1] neg_hi:[0,1]
	v_pk_add_f16 v4, v5, v24 neg_lo:[0,1] neg_hi:[0,1]
	v_pk_fma_f16 v27, v0, 2.0, v26 op_sel_hi:[1,0,1] neg_lo:[0,0,1] neg_hi:[0,0,1]
	v_pk_fma_f16 v0, v5, 2.0, v4 op_sel_hi:[1,0,1] neg_lo:[0,0,1] neg_hi:[0,0,1]
	s_mov_b32 s0, 0x7060302
	v_pk_add_f16 v0, v27, v0 neg_lo:[0,1] neg_hi:[0,1]
	v_perm_b32 v5, v14, v6, s0
	v_sub_f16_sdwa v23, v13, v23 dst_sel:DWORD dst_unused:UNUSED_PAD src0_sel:WORD_1 src1_sel:DWORD
	v_pk_fma_f16 v24, v27, 2.0, v0 op_sel_hi:[1,0,1] neg_lo:[0,0,1] neg_hi:[0,0,1]
	v_pk_add_f16 v6, v5, v19 neg_lo:[0,1] neg_hi:[0,1]
	v_lshrrev_b32_e32 v19, 16, v7
	v_lshrrev_b32_e32 v27, 16, v16
	v_perm_b32 v7, v16, v7, s0
	v_lshrrev_b32_e32 v16, 16, v15
	v_perm_b32 v15, v18, v15, s0
	v_perm_b32 v13, v14, v13, s0
	s_mov_b32 s0, 0xffff
	v_pk_add_f16 v20, v7, v20 neg_lo:[0,1] neg_hi:[0,1]
	v_bfi_b32 v14, s0, v23, v6
	v_pk_add_f16 v17, v15, v17 neg_lo:[0,1] neg_hi:[0,1]
	v_pk_fma_f16 v13, v13, 2.0, v14 op_sel_hi:[1,0,1] neg_lo:[0,0,1] neg_hi:[0,0,1]
	v_lshrrev_b32_e32 v14, 16, v20
	v_add_f16_sdwa v29, v23, v2 dst_sel:DWORD dst_unused:UNUSED_PAD src0_sel:DWORD src1_sel:WORD_1
	v_fma_f16 v7, v19, 2.0, -v20
	v_lshrrev_b32_e32 v19, 16, v18
	v_fma_f16 v18, v27, 2.0, -v14
	v_lshrrev_b32_e32 v14, 16, v17
	v_pk_add_f16 v31, v25, v6 neg_lo:[0,1] neg_hi:[0,1]
	v_pk_add_f16 v32, v22, v17 neg_lo:[0,1] neg_hi:[0,1]
	v_fma_f16 v30, v23, 2.0, -v29
	v_fma_f16 v15, v16, 2.0, -v17
	v_fma_f16 v19, v19, 2.0, -v14
	v_sub_f16_sdwa v23, v13, v13 dst_sel:DWORD dst_unused:UNUSED_PAD src0_sel:DWORD src1_sel:WORD_1
	v_pk_fma_f16 v25, v25, 2.0, v31 op_sel_hi:[1,0,1] neg_lo:[0,0,1] neg_hi:[0,0,1]
	v_pk_add_f16 v21, v20, v21
	v_pk_fma_f16 v17, v22, 2.0, v32 op_sel_hi:[1,0,1] neg_lo:[0,0,1] neg_hi:[0,0,1]
	s_movk_i32 s0, 0x39a8
	v_fma_f16 v14, v13, 2.0, -v23
	v_sub_f16_e32 v13, v18, v19
	v_pk_fma_f16 v20, v20, 2.0, v21 op_sel_hi:[1,0,1] neg_lo:[0,0,1] neg_hi:[0,0,1]
	v_pk_mul_f16 v19, v17, s0 op_sel_hi:[1,0]
	v_pk_fma_f16 v17, v17, s0, v25 op_sel_hi:[1,0,1] neg_lo:[1,0,0] neg_hi:[1,0,0]
	v_sub_f16_e32 v16, v7, v15
	v_fma_f16 v15, v18, 2.0, -v13
	v_pk_mul_f16 v18, v20, s0 op_sel_hi:[1,0]
	v_pk_fma_f16 v42, v20, s0, v17 op_sel_hi:[1,0,1] neg_lo:[1,0,0] neg_hi:[1,0,0]
	v_lshrrev_b32_e32 v20, 16, v26
	v_sub_f16_sdwa v22, v30, v18 dst_sel:DWORD dst_unused:UNUSED_PAD src0_sel:DWORD src1_sel:WORD_1
	v_sub_f16_e32 v43, v20, v13
	v_pk_fma_f16 v13, v32, s0, v31 op_sel_hi:[1,0,1]
	v_add_f16_sdwa v28, v19, v22 dst_sel:DWORD dst_unused:UNUSED_PAD src0_sel:WORD_1 src1_sel:DWORD
	v_pk_fma_f16 v22, v25, 2.0, v42 op_sel_hi:[1,0,1] neg_lo:[0,0,1] neg_hi:[0,0,1]
	v_pk_fma_f16 v47, v21, s0, v13 op_sel_hi:[1,0,1] neg_lo:[1,0,0] neg_hi:[1,0,0]
	v_sub_f16_e32 v33, v26, v16
	v_fma_f16 v17, v30, 2.0, -v28
	v_pk_fma_f16 v30, v31, 2.0, v47 op_sel_hi:[1,0,1] neg_lo:[0,0,1] neg_hi:[0,0,1]
	v_sub_f16_sdwa v44, v24, v24 dst_sel:DWORD dst_unused:UNUSED_PAD src0_sel:DWORD src1_sel:WORD_1
	v_lshrrev_b32_e32 v31, 16, v22
	s_mov_b32 s11, 0xbb64
	v_fma_f16 v39, v26, 2.0, -v33
	v_add_f16_sdwa v45, v23, v4 dst_sel:DWORD dst_unused:UNUSED_PAD src0_sel:DWORD src1_sel:WORD_1
	v_fma_f16 v25, v20, 2.0, -v43
	v_fma_f16 v13, v24, 2.0, -v44
	v_fma_f16 v24, v31, s11, v22
	s_mov_b32 s10, 0xb61f
	s_mov_b32 s1, 0xb9a8
	v_fma_f16 v23, v23, 2.0, -v45
	v_pk_mul_f16 v20, v21, s0 op_sel_hi:[1,0]
	v_fma_f16 v46, v17, s10, v24
	v_fma_f16 v24, v25, s1, v39
	v_pk_mul_f16 v27, v32, s0 op_sel_hi:[1,0]
	v_add_f16_sdwa v26, v29, v20 dst_sel:DWORD dst_unused:UNUSED_PAD src0_sel:DWORD src1_sel:WORD_1
	v_fma_f16 v38, v23, s1, v24
	v_add_f16_sdwa v36, v27, v26 dst_sel:DWORD dst_unused:UNUSED_PAD src0_sel:WORD_1 src1_sel:DWORD
	v_fma_f16 v24, v39, 2.0, -v38
	v_lshrrev_b32_e32 v39, 16, v30
	v_fma_f16 v32, v43, s0, v33
	v_fma_f16 v21, v29, 2.0, -v36
	v_mul_f16_e32 v37, 0x39a8, v23
	v_fma_f16 v23, v39, s10, v30
	v_lshrrev_b32_e32 v41, 16, v42
	s_movk_i32 s12, 0x361f
	v_fma_f16 v32, v45, s1, v32
	v_lshrrev_b32_e32 v51, 16, v47
	s_movk_i32 s13, 0x3b64
	v_sub_f16_e32 v15, v14, v15
	v_fma_f16 v26, v21, s11, v23
	v_fma_f16 v23, v41, s12, v42
	v_mul_f16_e32 v50, 0x39a8, v45
	v_fma_f16 v45, v33, 2.0, -v32
	v_fma_f16 v33, v51, s13, v47
	v_fma_f16 v22, v22, 2.0, -v46
	v_fma_f16 v29, v30, 2.0, -v26
	v_sub_f16_e32 v40, v0, v15
	v_fma_f16 v30, v28, s11, v23
	v_fma_f16 v33, v36, s10, v33
	v_lshl_add_u32 v52, v12, 5, 0
	s_load_dwordx2 s[2:3], s[2:3], 0x0
	v_mul_f16_e32 v35, 0x39a8, v25
	v_fma_f16 v25, v0, 2.0, -v40
	v_fma_f16 v23, v42, 2.0, -v30
	v_mul_f16_e32 v49, 0x39a8, v43
	v_fma_f16 v43, v47, 2.0, -v33
	v_lshl_add_u32 v42, v34, 1, v52
	v_pack_b32_f16 v47, v24, v29
	v_pack_b32_f16 v48, v13, v22
	ds_write2_b32 v42, v48, v47 offset1:1
	v_pack_b32_f16 v47, v45, v43
	v_pack_b32_f16 v48, v25, v23
	ds_write2_b32 v42, v48, v47 offset0:2 offset1:3
	v_pack_b32_f16 v47, v38, v26
	v_pack_b32_f16 v48, v44, v46
	ds_write2_b32 v42, v48, v47 offset0:4 offset1:5
	;; [unrolled: 3-line block ×3, first 2 shown]
	v_cmp_gt_u32_e64 s[0:1], 16, v12
	v_lshlrev_b32_e32 v47, 1, v34
	v_lshlrev_b32_e32 v48, 1, v12
	s_waitcnt lgkmcnt(0)
	s_barrier
	s_waitcnt lgkmcnt(0)
                                        ; implicit-def: $vgpr34
	s_and_saveexec_b64 s[4:5], s[0:1]
	s_cbranch_execz .LBB0_14
; %bb.13:
	v_mul_i32_i24_e32 v22, 0xffffffe2, v12
	v_add3_u32 v13, 0, v47, v48
	v_add3_u32 v34, v52, v22, v47
	ds_read_u16 v13, v13
	ds_read_u16 v22, v34 offset:32
	ds_read_u16 v24, v34 offset:64
	;; [unrolled: 1-line block ×16, first 2 shown]
.LBB0_14:
	s_or_b64 exec, exec, s[4:5]
	v_lshrrev_b32_e32 v1, 16, v1
	v_sub_f16_e32 v3, v1, v3
	v_fma_f16 v1, v1, 2.0, -v3
	v_fma_f16 v5, v5, 2.0, -v6
	v_add_f16_e32 v2, v3, v2
	v_sub_f16_e32 v5, v1, v5
	v_fma_f16 v3, v3, 2.0, -v2
	v_fma_f16 v1, v1, 2.0, -v5
	v_fma_f16 v6, v7, 2.0, -v16
	v_sub_f16_e32 v6, v1, v6
	v_sub_f16_e32 v7, v3, v18
	v_fma_f16 v1, v1, 2.0, -v6
	v_add_f16_e32 v7, v19, v7
	v_fma_f16 v14, v14, 2.0, -v15
	v_add_f16_e32 v15, v2, v20
	v_fma_f16 v3, v3, 2.0, -v7
	v_add_f16_e32 v4, v5, v4
	v_add_f16_e32 v52, v27, v15
	v_sub_f16_e32 v15, v1, v14
	v_fma_f16 v5, v5, 2.0, -v4
	v_fma_f16 v14, v1, 2.0, -v15
	v_fma_f16 v1, v17, s11, v3
	v_fma_f16 v2, v2, 2.0, -v52
	v_fma_f16 v16, v31, s12, v1
	v_sub_f16_e32 v1, v5, v37
	v_add_f16_e32 v17, v35, v1
	v_fma_f16 v1, v21, s10, v2
	v_add_f16_sdwa v21, v6, v0 dst_sel:DWORD dst_unused:UNUSED_PAD src0_sel:DWORD src1_sel:WORD_1
	v_fma_f16 v0, v28, s12, v7
	v_fma_f16 v37, v41, s13, v0
	v_add_f16_e32 v0, v4, v50
	v_fma_f16 v19, v39, s13, v1
	v_add_f16_e32 v39, v49, v0
	v_fma_f16 v0, v36, s13, v52
	v_fma_f16 v18, v3, 2.0, -v16
	v_fma_f16 v20, v5, 2.0, -v17
	;; [unrolled: 1-line block ×3, first 2 shown]
	v_fma_f16 v41, v51, s12, v0
	v_fma_f16 v31, v6, 2.0, -v21
	v_fma_f16 v28, v7, 2.0, -v37
	;; [unrolled: 1-line block ×4, first 2 shown]
	v_pack_b32_f16 v0, v20, v27
	v_pack_b32_f16 v1, v14, v18
	s_waitcnt lgkmcnt(0)
	s_barrier
	ds_write2_b32 v42, v1, v0 offset1:1
	v_pack_b32_f16 v0, v35, v36
	v_pack_b32_f16 v1, v31, v28
	ds_write2_b32 v42, v1, v0 offset0:2 offset1:3
	v_pack_b32_f16 v0, v17, v19
	v_pack_b32_f16 v1, v15, v16
	ds_write2_b32 v42, v1, v0 offset0:4 offset1:5
	;; [unrolled: 3-line block ×3, first 2 shown]
	s_waitcnt lgkmcnt(0)
	s_barrier
	s_waitcnt lgkmcnt(0)
                                        ; implicit-def: $vgpr42
	s_and_saveexec_b64 s[4:5], s[0:1]
	s_cbranch_execz .LBB0_16
; %bb.15:
	v_add3_u32 v0, 0, v47, v48
	v_add3_u32 v1, 0, v48, v47
	ds_read_u16 v14, v0
	ds_read_u16 v18, v1 offset:32
	ds_read_u16 v20, v1 offset:64
	;; [unrolled: 1-line block ×16, first 2 shown]
.LBB0_16:
	s_or_b64 exec, exec, s[4:5]
	v_cmp_gt_u32_e64 s[0:1], 16, v12
	s_and_b64 s[0:1], vcc, s[0:1]
	s_and_saveexec_b64 s[4:5], s[0:1]
	s_cbranch_execz .LBB0_18
; %bb.17:
	v_lshlrev_b32_e32 v0, 4, v12
	v_and_b32_e32 v0, 0xf0, v0
	v_lshlrev_b32_e32 v47, 2, v0
	global_load_dwordx4 v[4:7], v47, s[8:9]
	global_load_dwordx4 v[0:3], v47, s[8:9] offset:48
	global_load_dwordx4 v[48:51], v47, s[8:9] offset:16
	;; [unrolled: 1-line block ×3, first 2 shown]
	v_mul_lo_u32 v47, s3, v10
	v_mul_lo_u32 v56, s2, v11
	v_mad_u64_u32 v[10:11], s[0:1], s2, v10, 0
	v_add3_u32 v11, v11, v56, v47
	s_movk_i32 s5, 0x3964
	s_movk_i32 s18, 0x3bf7
	;; [unrolled: 1-line block ×4, first 2 shown]
	s_mov_b32 s11, 0xb836
	s_mov_b32 s24, 0xbbb2
	;; [unrolled: 1-line block ×4, first 2 shown]
	s_movk_i32 s1, 0x39e9
	s_movk_i32 s0, 0x2de8
	s_mov_b32 s2, 0xb8d2
	s_mov_b32 s3, 0xbbdd
	;; [unrolled: 1-line block ×4, first 2 shown]
	s_movk_i32 s9, 0x3722
	s_movk_i32 s10, 0x3b76
	;; [unrolled: 1-line block ×3, first 2 shown]
	s_mov_b32 s20, 0xb1e1
	s_mov_b32 s22, 0xb964
	s_movk_i32 s21, 0x35c8
	s_movk_i32 s23, 0x3836
	s_mov_b32 s25, 0xba62
	s_movk_i32 s26, 0x3bb2
	s_mov_b32 s27, 0xbbf7
	s_waitcnt vmcnt(3)
	v_lshrrev_b32_e32 v47, 16, v4
	v_lshrrev_b32_e32 v57, 16, v6
	s_waitcnt lgkmcnt(14)
	v_mul_f16_e32 v59, v18, v4
	s_waitcnt vmcnt(2)
	v_lshrrev_b32_e32 v63, 16, v3
	s_waitcnt lgkmcnt(0)
	v_mul_f16_e32 v64, v42, v3
	s_waitcnt vmcnt(1)
	v_lshrrev_b32_e32 v81, 16, v51
	s_waitcnt vmcnt(0)
	v_lshrrev_b32_e32 v78, 16, v54
	v_lshrrev_b32_e32 v56, 16, v5
	v_lshrrev_b32_e32 v58, 16, v7
	v_mul_f16_e32 v60, v20, v5
	v_mul_f16_e32 v61, v27, v6
	v_lshrrev_b32_e32 v65, 16, v2
	v_mul_f16_e32 v66, v41, v2
	v_mul_f16_e32 v82, v15, v51
	v_lshrrev_b32_e32 v73, 16, v55
	v_mul_f16_e32 v80, v19, v54
	v_lshrrev_b32_e32 v85, 16, v52
	v_mul_f16_e32 v87, v18, v47
	v_mul_f16_e32 v89, v27, v57
	;; [unrolled: 1-line block ×5, first 2 shown]
	v_fma_f16 v15, v34, v63, v64
	v_fma_f16 v19, v22, v47, v59
	v_mul_f16_e32 v62, v31, v7
	v_lshrrev_b32_e32 v67, 16, v1
	v_mul_f16_e32 v68, v39, v1
	v_lshrrev_b32_e32 v69, 16, v0
	;; [unrolled: 2-line block ×4, first 2 shown]
	v_mul_f16_e32 v86, v16, v52
	v_mul_f16_e32 v88, v20, v56
	;; [unrolled: 1-line block ×6, first 2 shown]
	v_fma_f16 v16, v33, v65, v66
	v_fma_f16 v20, v24, v56, v60
	v_fma_f16 v21, v29, v57, v61
	v_fma_f16 v27, v22, v4, -v87
	v_fma_f16 v29, v29, v6, -v89
	;; [unrolled: 1-line block ×3, first 2 shown]
	v_add_f16_e32 v4, v15, v19
	v_mul_f16_e32 v72, v28, v48
	v_mul_f16_e32 v84, v17, v53
	;; [unrolled: 1-line block ×6, first 2 shown]
	v_fma_f16 v17, v32, v67, v68
	v_fma_f16 v18, v30, v69, v70
	v_fma_f16 v28, v24, v5, -v88
	v_fma_f16 v31, v25, v7, -v31
	;; [unrolled: 1-line block ×3, first 2 shown]
	v_mul_f16_e32 v69, 0x39e9, v4
	v_sub_f16_e32 v61, v27, v6
	v_add_f16_e32 v5, v16, v20
	v_lshrrev_b32_e32 v74, 16, v49
	v_fma_f16 v22, v32, v1, -v39
	v_fma_f16 v24, v30, v0, -v37
	;; [unrolled: 1-line block ×3, first 2 shown]
	v_fma_f16 v30, v25, v58, v62
	v_fma_f16 v0, v61, s5, v69
	;; [unrolled: 1-line block ×3, first 2 shown]
	v_mul_f16_e32 v73, 0x2de8, v5
	v_sub_f16_e32 v62, v28, v7
	v_fma_f16 v42, v23, v71, v72
	v_add_f16_e32 v23, v17, v21
	v_mul_f16_e32 v76, v35, v49
	v_lshrrev_b32_e32 v77, 16, v50
	v_mul_f16_e32 v35, v35, v74
	v_fma_f16 v32, v40, v55, -v92
	v_fma_f16 v33, v26, v54, -v93
	v_add_f16_e32 v0, v14, v0
	v_fma_f16 v1, v62, s18, v73
	v_mul_f16_e32 v75, 0xb8d2, v23
	v_fma_f16 v40, v26, v78, v80
	v_sub_f16_e32 v63, v29, v22
	v_add_f16_e32 v26, v18, v30
	v_mul_f16_e32 v79, v36, v50
	v_mul_f16_e32 v36, v36, v77
	v_fma_f16 v35, v45, v49, -v35
	v_fma_f16 v39, v38, v53, -v94
	v_add_f16_e32 v0, v0, v1
	v_fma_f16 v1, v63, s13, v75
	v_fma_f16 v45, v45, v74, v76
	v_mul_f16_e32 v78, 0xbbdd, v26
	v_sub_f16_e32 v65, v31, v24
	v_fma_f16 v47, v38, v83, v84
	v_add_f16_e32 v38, v25, v42
	v_fma_f16 v36, v43, v50, -v36
	v_add_f16_e32 v0, v0, v1
	v_fma_f16 v1, v65, s12, v78
	v_mul_f16_e32 v80, 0xbacd, v38
	v_fma_f16 v49, v43, v77, v79
	v_sub_f16_e32 v66, v34, v32
	v_add_f16_e32 v43, v40, v45
	v_fma_f16 v37, v44, v51, -v91
	v_add_f16_e32 v0, v0, v1
	v_fma_f16 v1, v66, s11, v80
	v_fma_f16 v51, v46, v85, v86
	v_mul_f16_e32 v83, 0xb461, v43
	v_sub_f16_e32 v67, v35, v33
	v_fma_f16 v53, v44, v81, v82
	v_add_f16_e32 v44, v47, v49
	v_fma_f16 v41, v46, v52, -v95
	v_add_f16_e32 v0, v0, v1
	v_fma_f16 v1, v67, s24, v83
	v_mul_f16_e32 v85, 0x3722, v44
	v_sub_f16_e32 v68, v36, v39
	v_add_f16_e32 v48, v51, v53
	v_add_f16_e32 v0, v0, v1
	v_fma_f16 v1, v68, s15, v85
	v_mul_f16_e32 v87, 0x3b76, v48
	v_sub_f16_e32 v70, v37, v41
	v_sub_f16_e32 v71, v19, v15
	v_add_f16_e32 v0, v0, v1
	v_fma_f16 v1, v70, s14, v87
	v_add_f16_e32 v50, v6, v27
	v_mul_f16_e32 v88, 0xb964, v71
	v_sub_f16_e32 v74, v20, v16
	v_add_f16_e32 v0, v0, v1
	v_fma_f16 v1, v50, s1, v88
	v_add_f16_e32 v52, v7, v28
	v_mul_f16_e32 v89, 0xbbf7, v74
	;; [unrolled: 5-line block ×8, first 2 shown]
	v_add_f16_e32 v1, v1, v2
	v_fma_f16 v2, v60, s10, v96
	v_mul_f16_e32 v97, 0x3722, v4
	v_add_f16_e32 v1, v1, v2
	v_fma_f16 v2, v61, s19, v97
	v_mul_f16_e32 v98, 0xb8d2, v5
	;; [unrolled: 3-line block ×58, first 2 shown]
	v_add_f16_e32 v92, v13, v92
	v_fma_f16 v155, v52, s8, v154
	v_add_f16_e32 v92, v92, v155
	v_mul_f16_e32 v155, 0xb5c8, v76
	v_fma_f16 v156, v54, s10, v155
	v_add_f16_e32 v92, v92, v156
	v_mul_f16_e32 v156, 0xb836, v77
	;; [unrolled: 3-line block ×7, first 2 shown]
	v_fma_f16 v162, v61, s23, v161
	v_mul_f16_e32 v163, 0x3722, v5
	v_add_f16_e32 v162, v14, v162
	v_fma_f16 v164, v62, s15, v163
	v_add_f16_e32 v162, v162, v164
	v_mul_f16_e32 v164, 0x2de8, v23
	v_fma_f16 v165, v63, s18, v164
	v_add_f16_e32 v162, v162, v165
	v_mul_f16_e32 v165, 0xb8d2, v26
	;; [unrolled: 3-line block ×7, first 2 shown]
	v_fma_f16 v171, v50, s4, v170
	v_mul_f16_e32 v172, 0x3b29, v74
	v_add_f16_e32 v171, v13, v171
	v_fma_f16 v173, v52, s9, v172
	v_add_f16_e32 v171, v171, v173
	v_mul_f16_e32 v173, 0xbbf7, v76
	v_fma_f16 v174, v54, s0, v173
	v_add_f16_e32 v171, v171, v174
	v_mul_f16_e32 v174, 0x3a62, v77
	;; [unrolled: 3-line block ×4, first 2 shown]
	v_fma_f16 v177, v58, s3, v176
	v_fma_f16 v69, v61, s22, v69
	v_add_f16_e32 v171, v171, v177
	v_mul_f16_e32 v177, 0x3964, v82
	v_add_f16_e32 v69, v14, v69
	v_fma_f16 v73, v62, s27, v73
	v_fma_f16 v178, v59, s1, v177
	v_add_f16_e32 v69, v69, v73
	v_fma_f16 v73, v63, s25, v75
	v_add_f16_e32 v171, v171, v178
	v_mul_f16_e32 v178, 0xbbb2, v84
	v_add_f16_e32 v69, v69, v73
	v_fma_f16 v73, v65, s20, v78
	v_fma_f16 v179, v60, s8, v178
	v_add_f16_e32 v69, v69, v73
	v_fma_f16 v73, v66, s23, v80
	v_add_f16_e32 v171, v171, v179
	v_mul_f16_e32 v179, 0xbbdd, v4
	v_add_f16_e32 v69, v69, v73
	v_fma_f16 v73, v67, s26, v83
	v_fma_f16 v180, v61, s12, v179
	v_mul_f16_e32 v181, 0x3b76, v5
	v_add_f16_e32 v69, v69, v73
	v_fma_f16 v73, v68, s19, v85
	v_add_f16_e32 v27, v13, v27
	v_add_f16_e32 v180, v14, v180
	v_fma_f16 v182, v62, s14, v181
	v_add_f16_e32 v69, v69, v73
	v_fma_f16 v73, v70, s21, v87
	v_add_f16_e32 v27, v27, v28
	v_add_f16_e32 v180, v180, v182
	v_mul_f16_e32 v182, 0xbacd, v23
	v_add_f16_e32 v69, v69, v73
	v_fma_f16 v73, v50, s1, -v88
	v_add_f16_e32 v27, v27, v29
	v_fma_f16 v183, v63, s23, v182
	v_add_f16_e32 v73, v13, v73
	v_fma_f16 v75, v52, s0, -v89
	v_add_f16_e32 v27, v27, v31
	v_add_f16_e32 v180, v180, v183
	v_mul_f16_e32 v183, 0x39e9, v26
	v_add_f16_e32 v73, v73, v75
	v_fma_f16 v75, v54, s2, -v90
	v_add_f16_e32 v27, v27, v34
	v_fma_f16 v184, v65, s22, v183
	v_add_f16_e32 v73, v73, v75
	v_fma_f16 v75, v55, s3, -v91
	;; [unrolled: 9-line block ×3, first 2 shown]
	v_add_f16_e32 v27, v27, v37
	v_add_f16_e32 v180, v180, v185
	v_mul_f16_e32 v185, 0x3722, v43
	v_add_f16_e32 v73, v73, v75
	v_fma_f16 v75, v59, s9, -v95
	v_add_f16_e32 v27, v41, v27
	v_fma_f16 v186, v67, s15, v185
	v_fma_f16 v179, v61, s20, v179
	;; [unrolled: 1-line block ×7, first 2 shown]
	v_add_f16_e32 v73, v73, v75
	v_fma_f16 v75, v60, s10, -v96
	v_mul_f16_e32 v61, 0xb5c8, v61
	v_add_f16_e32 v27, v39, v27
	v_add_f16_e32 v180, v180, v186
	v_mul_f16_e32 v186, 0xb461, v44
	v_add_f16_e32 v179, v14, v179
	v_fma_f16 v181, v62, s21, v181
	v_add_f16_e32 v161, v14, v161
	v_fma_f16 v163, v62, s19, v163
	;; [unrolled: 2-line block ×7, first 2 shown]
	v_mul_f16_e32 v62, 0xb964, v62
	v_add_f16_e32 v27, v33, v27
	v_fma_f16 v187, v68, s26, v186
	v_add_f16_e32 v179, v179, v181
	v_fma_f16 v181, v63, s11, v182
	;; [unrolled: 2-line block ×8, first 2 shown]
	v_mul_f16_e32 v63, 0xbb29, v63
	v_add_f16_e32 v27, v32, v27
	v_add_f16_e32 v180, v180, v187
	v_mul_f16_e32 v187, 0x2de8, v48
	v_add_f16_e32 v179, v179, v181
	v_fma_f16 v181, v65, s5, v183
	v_add_f16_e32 v161, v161, v163
	v_fma_f16 v163, v65, s13, v165
	;; [unrolled: 2-line block ×7, first 2 shown]
	v_mul_f16_e32 v65, 0xbbf7, v65
	v_add_f16_e32 v24, v24, v27
	v_fma_f16 v188, v70, s27, v187
	v_add_f16_e32 v179, v179, v181
	v_fma_f16 v181, v66, s25, v184
	;; [unrolled: 2-line block ×8, first 2 shown]
	v_mul_f16_e32 v66, 0xbbb2, v66
	v_add_f16_e32 v22, v22, v24
	v_fma_f16 v4, v4, s10, -v61
	v_add_f16_e32 v180, v180, v188
	v_mul_f16_e32 v188, 0xb1e1, v71
	v_add_f16_e32 v179, v179, v181
	v_fma_f16 v181, v67, s19, v185
	v_add_f16_e32 v161, v161, v163
	v_fma_f16 v163, v67, s20, v167
	;; [unrolled: 2-line block ×7, first 2 shown]
	v_mul_f16_e32 v67, 0xba62, v67
	v_add_f16_e32 v7, v7, v22
	v_add_f16_e32 v4, v14, v4
	v_fma_f16 v5, v5, s1, -v62
	v_fma_f16 v189, v50, s3, v188
	v_mul_f16_e32 v190, 0x35c8, v74
	v_add_f16_e32 v179, v179, v181
	v_fma_f16 v181, v68, s24, v186
	v_add_f16_e32 v161, v161, v163
	v_fma_f16 v163, v68, s5, v168
	;; [unrolled: 2-line block ×7, first 2 shown]
	v_mul_f16_e32 v68, 0xb836, v68
	v_add_f16_e32 v22, v6, v7
	v_add_f16_e32 v6, v14, v19
	;; [unrolled: 1-line block ×3, first 2 shown]
	v_fma_f16 v5, v23, s9, -v63
	v_add_f16_e32 v189, v13, v189
	v_fma_f16 v191, v52, s10, v190
	v_add_f16_e32 v179, v179, v181
	v_fma_f16 v181, v70, s18, v187
	;; [unrolled: 2-line block ×8, first 2 shown]
	v_mul_f16_e32 v70, 0xb1e1, v70
	v_add_f16_e32 v6, v6, v20
	v_add_f16_e32 v4, v4, v5
	v_fma_f16 v5, v26, s0, -v65
	v_add_f16_e32 v189, v189, v191
	v_mul_f16_e32 v191, 0xb836, v76
	v_add_f16_e32 v75, v75, v78
	v_fma_f16 v78, v48, s3, v70
	v_mul_f16_e32 v71, 0xb5c8, v71
	v_add_f16_e32 v6, v6, v21
	v_add_f16_e32 v4, v4, v5
	v_fma_f16 v5, v38, s8, -v66
	v_fma_f16 v192, v54, s4, v191
	v_add_f16_e32 v75, v75, v78
	v_fma_f16 v78, v50, s10, -v71
	v_mul_f16_e32 v74, 0xb964, v74
	v_add_f16_e32 v6, v6, v30
	v_add_f16_e32 v4, v4, v5
	v_fma_f16 v5, v43, s2, -v67
	v_add_f16_e32 v189, v189, v192
	v_mul_f16_e32 v192, 0x3964, v77
	v_add_f16_e32 v78, v13, v78
	v_fma_f16 v80, v52, s1, -v74
	v_mul_f16_e32 v76, 0xbb29, v76
	v_add_f16_e32 v6, v6, v42
	v_add_f16_e32 v4, v4, v5
	v_fma_f16 v5, v44, s4, -v68
	v_fma_f16 v193, v55, s1, v192
	v_add_f16_e32 v78, v78, v80
	v_fma_f16 v80, v54, s9, -v76
	v_mul_f16_e32 v77, 0xbbf7, v77
	v_add_f16_e32 v6, v6, v45
	v_add_f16_e32 v4, v4, v5
	v_fma_f16 v5, v48, s3, -v70
	v_add_f16_e32 v189, v189, v193
	v_mul_f16_e32 v193, 0xba62, v79
	v_add_f16_e32 v78, v78, v80
	v_fma_f16 v80, v55, s0, -v77
	v_mul_f16_e32 v79, 0xbbb2, v79
	v_add_f16_e32 v6, v6, v49
	v_add_f16_e32 v14, v4, v5
	v_fma_f16 v4, v50, s10, v71
	v_add_f16_e32 v179, v179, v181
	v_fma_f16 v181, v50, s3, -v188
	v_add_f16_e32 v113, v113, v114
	v_fma_f16 v114, v50, s0, -v121
	;; [unrolled: 2-line block ×3, first 2 shown]
	v_add_f16_e32 v6, v6, v53
	v_add_f16_e32 v4, v13, v4
	v_fma_f16 v5, v52, s1, v74
	v_fma_f16 v194, v57, s2, v193
	v_add_f16_e32 v181, v13, v181
	v_fma_f16 v182, v52, s10, -v190
	v_add_f16_e32 v161, v161, v163
	v_fma_f16 v163, v50, s4, -v170
	v_add_f16_e32 v114, v13, v114
	v_fma_f16 v115, v52, s3, -v122
	v_add_f16_e32 v97, v97, v98
	v_fma_f16 v98, v50, s9, -v105
	v_add_f16_e32 v78, v78, v80
	v_mul_f16_e32 v80, 0xba62, v81
	v_add_f16_e32 v6, v51, v6
	v_add_f16_e32 v4, v4, v5
	v_fma_f16 v5, v54, s9, v76
	v_add_f16_e32 v189, v189, v194
	v_mul_f16_e32 v194, 0x3b29, v81
	v_add_f16_e32 v181, v181, v182
	v_fma_f16 v182, v54, s4, -v191
	v_add_f16_e32 v163, v13, v163
	v_fma_f16 v164, v52, s9, -v172
	;; [unrolled: 2-line block ×6, first 2 shown]
	v_fma_f16 v81, v58, s2, -v80
	v_add_f16_e32 v6, v47, v6
	v_add_f16_e32 v4, v4, v5
	v_fma_f16 v5, v55, s0, v77
	v_fma_f16 v195, v58, s9, v194
	v_add_f16_e32 v181, v181, v182
	v_fma_f16 v182, v55, s1, -v192
	v_add_f16_e32 v163, v163, v164
	v_fma_f16 v164, v54, s0, -v173
	;; [unrolled: 2-line block ×6, first 2 shown]
	v_add_f16_e32 v78, v78, v81
	v_mul_f16_e32 v81, 0xb836, v82
	v_add_f16_e32 v6, v40, v6
	v_add_f16_e32 v4, v4, v5
	v_fma_f16 v5, v57, s8, v79
	v_add_f16_e32 v189, v189, v195
	v_mul_f16_e32 v195, 0xbbb2, v82
	v_add_f16_e32 v181, v181, v182
	v_fma_f16 v182, v57, s2, -v193
	v_add_f16_e32 v163, v163, v164
	v_fma_f16 v164, v55, s2, -v174
	;; [unrolled: 2-line block ×6, first 2 shown]
	v_fma_f16 v82, v59, s4, -v81
	v_add_f16_e32 v6, v25, v6
	v_add_f16_e32 v4, v4, v5
	v_fma_f16 v5, v58, s2, v80
	v_fma_f16 v196, v59, s8, v195
	v_add_f16_e32 v181, v181, v182
	v_fma_f16 v182, v58, s9, -v194
	v_add_f16_e32 v163, v163, v164
	v_fma_f16 v164, v57, s10, -v175
	;; [unrolled: 2-line block ×6, first 2 shown]
	v_add_f16_e32 v78, v78, v82
	v_mul_f16_e32 v82, 0xb1e1, v84
	v_add_f16_e32 v6, v18, v6
	v_add_f16_e32 v4, v4, v5
	v_fma_f16 v5, v59, s4, v81
	v_add_f16_e32 v189, v189, v196
	v_mul_f16_e32 v196, 0x3bf7, v84
	v_add_f16_e32 v181, v181, v182
	v_fma_f16 v182, v59, s8, -v195
	v_add_f16_e32 v163, v163, v164
	v_fma_f16 v164, v58, s3, -v176
	;; [unrolled: 2-line block ×6, first 2 shown]
	v_add_f16_e32 v6, v17, v6
	v_add_f16_e32 v4, v4, v5
	v_fma_f16 v5, v60, s3, v82
	v_fma_f16 v197, v60, s0, v196
	v_add_f16_e32 v181, v181, v182
	v_fma_f16 v182, v60, s0, -v196
	v_add_f16_e32 v163, v163, v164
	v_fma_f16 v164, v59, s1, -v177
	;; [unrolled: 2-line block ×6, first 2 shown]
	v_add_f16_e32 v6, v16, v6
	v_add_f16_e32 v13, v4, v5
	v_mad_u64_u32 v[4:5], s[0:1], s16, v12, 0
	v_add_f16_e32 v15, v15, v6
	v_mov_b32_e32 v6, v5
	v_mad_u64_u32 v[6:7], s[0:1], s17, v12, v[6:7]
	v_mov_b32_e32 v5, v6
	v_lshl_add_u64 v[6:7], v[10:11], 2, s[6:7]
	v_lshl_add_u64 v[6:7], v[8:9], 2, v[6:7]
	;; [unrolled: 1-line block ×3, first 2 shown]
	v_pack_b32_f16 v8, v22, v15
	v_or_b32_e32 v9, 16, v12
	global_store_dword v[4:5], v8, off
	v_mad_u64_u32 v[4:5], s[0:1], s16, v9, 0
	v_mov_b32_e32 v8, v5
	v_fma_f16 v83, v60, s3, -v82
	v_mad_u64_u32 v[8:9], s[0:1], s17, v9, v[8:9]
	v_add_f16_e32 v78, v78, v83
	v_mov_b32_e32 v5, v8
	v_lshl_add_u64 v[4:5], v[4:5], 2, v[6:7]
	v_pack_b32_f16 v8, v78, v75
	v_or_b32_e32 v9, 32, v12
	global_store_dword v[4:5], v8, off
	v_mad_u64_u32 v[4:5], s[0:1], s16, v9, 0
	v_mov_b32_e32 v8, v5
	v_mad_u64_u32 v[8:9], s[0:1], s17, v9, v[8:9]
	v_mov_b32_e32 v5, v8
	v_lshl_add_u64 v[4:5], v[4:5], 2, v[6:7]
	v_pack_b32_f16 v8, v73, v69
	v_or_b32_e32 v9, 48, v12
	global_store_dword v[4:5], v8, off
	v_mad_u64_u32 v[4:5], s[0:1], s16, v9, 0
	v_mov_b32_e32 v8, v5
	v_add_f16_e32 v98, v98, v99
	v_fma_f16 v99, v60, s4, -v112
	v_mad_u64_u32 v[8:9], s[0:1], s17, v9, v[8:9]
	v_add_f16_e32 v98, v98, v99
	v_mov_b32_e32 v5, v8
	v_lshl_add_u64 v[4:5], v[4:5], 2, v[6:7]
	v_pack_b32_f16 v8, v98, v97
	v_or_b32_e32 v9, 64, v12
	global_store_dword v[4:5], v8, off
	v_mad_u64_u32 v[4:5], s[0:1], s16, v9, 0
	v_mov_b32_e32 v8, v5
	v_mad_u64_u32 v[8:9], s[0:1], s17, v9, v[8:9]
	v_add_f16_e32 v114, v114, v115
	v_mov_b32_e32 v5, v8
	v_lshl_add_u64 v[4:5], v[4:5], 2, v[6:7]
	v_pack_b32_f16 v8, v114, v113
	v_or_b32_e32 v9, 0x50, v12
	global_store_dword v[4:5], v8, off
	v_mad_u64_u32 v[4:5], s[0:1], s16, v9, 0
	v_add_f16_e32 v130, v130, v131
	v_fma_f16 v131, v59, s10, -v143
	v_mov_b32_e32 v8, v5
	v_add_f16_e32 v130, v130, v131
	v_fma_f16 v131, v60, s2, -v144
	v_mad_u64_u32 v[8:9], s[0:1], s17, v9, v[8:9]
	v_add_f16_e32 v130, v130, v131
	v_mov_b32_e32 v5, v8
	v_lshl_add_u64 v[4:5], v[4:5], 2, v[6:7]
	v_pack_b32_f16 v8, v130, v129
	v_or_b32_e32 v9, 0x60, v12
	global_store_dword v[4:5], v8, off
	v_mad_u64_u32 v[4:5], s[0:1], s16, v9, 0
	v_add_f16_e32 v146, v146, v147
	v_fma_f16 v147, v59, s3, -v159
	v_mov_b32_e32 v8, v5
	v_add_f16_e32 v146, v146, v147
	v_fma_f16 v147, v60, s9, -v160
	v_mad_u64_u32 v[8:9], s[0:1], s17, v9, v[8:9]
	v_add_f16_e32 v146, v146, v147
	v_mov_b32_e32 v5, v8
	v_lshl_add_u64 v[4:5], v[4:5], 2, v[6:7]
	v_pack_b32_f16 v8, v146, v145
	v_or_b32_e32 v9, 0x70, v12
	global_store_dword v[4:5], v8, off
	v_mad_u64_u32 v[4:5], s[0:1], s16, v9, 0
	v_mov_b32_e32 v8, v5
	v_add_f16_e32 v163, v163, v164
	v_fma_f16 v164, v60, s8, -v178
	v_mad_u64_u32 v[8:9], s[0:1], s17, v9, v[8:9]
	v_add_f16_e32 v163, v163, v164
	v_mov_b32_e32 v5, v8
	v_lshl_add_u64 v[4:5], v[4:5], 2, v[6:7]
	v_pack_b32_f16 v8, v163, v161
	v_or_b32_e32 v9, 0x80, v12
	global_store_dword v[4:5], v8, off
	v_mad_u64_u32 v[4:5], s[0:1], s16, v9, 0
	v_mov_b32_e32 v8, v5
	v_mad_u64_u32 v[8:9], s[0:1], s17, v9, v[8:9]
	v_add_f16_e32 v181, v181, v182
	v_mov_b32_e32 v5, v8
	v_lshl_add_u64 v[4:5], v[4:5], 2, v[6:7]
	v_pack_b32_f16 v8, v181, v179
	v_or_b32_e32 v9, 0x90, v12
	global_store_dword v[4:5], v8, off
	v_mad_u64_u32 v[4:5], s[0:1], s16, v9, 0
	v_mov_b32_e32 v8, v5
	;; [unrolled: 9-line block ×3, first 2 shown]
	v_mad_u64_u32 v[8:9], s[0:1], s17, v9, v[8:9]
	v_mov_b32_e32 v5, v8
	v_lshl_add_u64 v[4:5], v[4:5], 2, v[6:7]
	v_pack_b32_f16 v8, v171, v162
	v_or_b32_e32 v9, 0xb0, v12
	global_store_dword v[4:5], v8, off
	v_mad_u64_u32 v[4:5], s[0:1], s16, v9, 0
	v_mov_b32_e32 v8, v5
	v_mad_u64_u32 v[8:9], s[0:1], s17, v9, v[8:9]
	v_mov_b32_e32 v5, v8
	v_lshl_add_u64 v[4:5], v[4:5], 2, v[6:7]
	v_pack_b32_f16 v8, v92, v86
	v_or_b32_e32 v9, 0xc0, v12
	global_store_dword v[4:5], v8, off
	v_mad_u64_u32 v[4:5], s[0:1], s16, v9, 0
	v_mov_b32_e32 v8, v5
	;; [unrolled: 8-line block ×4, first 2 shown]
	v_mad_u64_u32 v[8:9], s[0:1], s17, v9, v[8:9]
	v_mov_b32_e32 v5, v8
	v_lshl_add_u64 v[4:5], v[4:5], 2, v[6:7]
	v_pack_b32_f16 v2, v3, v2
	global_store_dword v[4:5], v2, off
	v_or_b32_e32 v5, 0xf0, v12
	v_mad_u64_u32 v[2:3], s[0:1], s16, v5, 0
	v_mov_b32_e32 v4, v3
	v_mad_u64_u32 v[4:5], s[0:1], s17, v5, v[4:5]
	v_mov_b32_e32 v3, v4
	v_lshl_add_u64 v[2:3], v[2:3], 2, v[6:7]
	v_pack_b32_f16 v0, v1, v0
	global_store_dword v[2:3], v0, off
	v_or_b32_e32 v3, 0x100, v12
	v_mad_u64_u32 v[0:1], s[0:1], s16, v3, 0
	v_mov_b32_e32 v2, v1
	v_mad_u64_u32 v[2:3], s[0:1], s17, v3, v[2:3]
	v_mov_b32_e32 v1, v2
	v_lshl_add_u64 v[0:1], v[0:1], 2, v[6:7]
	v_pack_b32_f16 v2, v13, v14
	global_store_dword v[0:1], v2, off
.LBB0_18:
	s_endpgm
	.section	.rodata,"a",@progbits
	.p2align	6, 0x0
	.amdhsa_kernel fft_rtc_fwd_len272_factors_16_17_wgs_119_tpt_17_halfLds_half_op_CI_CI_sbrr_dirReg
		.amdhsa_group_segment_fixed_size 0
		.amdhsa_private_segment_fixed_size 0
		.amdhsa_kernarg_size 104
		.amdhsa_user_sgpr_count 2
		.amdhsa_user_sgpr_dispatch_ptr 0
		.amdhsa_user_sgpr_queue_ptr 0
		.amdhsa_user_sgpr_kernarg_segment_ptr 1
		.amdhsa_user_sgpr_dispatch_id 0
		.amdhsa_user_sgpr_kernarg_preload_length 0
		.amdhsa_user_sgpr_kernarg_preload_offset 0
		.amdhsa_user_sgpr_private_segment_size 0
		.amdhsa_uses_dynamic_stack 0
		.amdhsa_enable_private_segment 0
		.amdhsa_system_sgpr_workgroup_id_x 1
		.amdhsa_system_sgpr_workgroup_id_y 0
		.amdhsa_system_sgpr_workgroup_id_z 0
		.amdhsa_system_sgpr_workgroup_info 0
		.amdhsa_system_vgpr_workitem_id 0
		.amdhsa_next_free_vgpr 198
		.amdhsa_next_free_sgpr 32
		.amdhsa_accum_offset 200
		.amdhsa_reserve_vcc 1
		.amdhsa_float_round_mode_32 0
		.amdhsa_float_round_mode_16_64 0
		.amdhsa_float_denorm_mode_32 3
		.amdhsa_float_denorm_mode_16_64 3
		.amdhsa_dx10_clamp 1
		.amdhsa_ieee_mode 1
		.amdhsa_fp16_overflow 0
		.amdhsa_tg_split 0
		.amdhsa_exception_fp_ieee_invalid_op 0
		.amdhsa_exception_fp_denorm_src 0
		.amdhsa_exception_fp_ieee_div_zero 0
		.amdhsa_exception_fp_ieee_overflow 0
		.amdhsa_exception_fp_ieee_underflow 0
		.amdhsa_exception_fp_ieee_inexact 0
		.amdhsa_exception_int_div_zero 0
	.end_amdhsa_kernel
	.text
.Lfunc_end0:
	.size	fft_rtc_fwd_len272_factors_16_17_wgs_119_tpt_17_halfLds_half_op_CI_CI_sbrr_dirReg, .Lfunc_end0-fft_rtc_fwd_len272_factors_16_17_wgs_119_tpt_17_halfLds_half_op_CI_CI_sbrr_dirReg
                                        ; -- End function
	.section	.AMDGPU.csdata,"",@progbits
; Kernel info:
; codeLenInByte = 10016
; NumSgprs: 38
; NumVgprs: 198
; NumAgprs: 0
; TotalNumVgprs: 198
; ScratchSize: 0
; MemoryBound: 0
; FloatMode: 240
; IeeeMode: 1
; LDSByteSize: 0 bytes/workgroup (compile time only)
; SGPRBlocks: 4
; VGPRBlocks: 24
; NumSGPRsForWavesPerEU: 38
; NumVGPRsForWavesPerEU: 198
; AccumOffset: 200
; Occupancy: 2
; WaveLimiterHint : 1
; COMPUTE_PGM_RSRC2:SCRATCH_EN: 0
; COMPUTE_PGM_RSRC2:USER_SGPR: 2
; COMPUTE_PGM_RSRC2:TRAP_HANDLER: 0
; COMPUTE_PGM_RSRC2:TGID_X_EN: 1
; COMPUTE_PGM_RSRC2:TGID_Y_EN: 0
; COMPUTE_PGM_RSRC2:TGID_Z_EN: 0
; COMPUTE_PGM_RSRC2:TIDIG_COMP_CNT: 0
; COMPUTE_PGM_RSRC3_GFX90A:ACCUM_OFFSET: 49
; COMPUTE_PGM_RSRC3_GFX90A:TG_SPLIT: 0
	.text
	.p2alignl 6, 3212836864
	.fill 256, 4, 3212836864
	.type	__hip_cuid_12a18c1f8f53bf52,@object ; @__hip_cuid_12a18c1f8f53bf52
	.section	.bss,"aw",@nobits
	.globl	__hip_cuid_12a18c1f8f53bf52
__hip_cuid_12a18c1f8f53bf52:
	.byte	0                               ; 0x0
	.size	__hip_cuid_12a18c1f8f53bf52, 1

	.ident	"AMD clang version 19.0.0git (https://github.com/RadeonOpenCompute/llvm-project roc-6.4.0 25133 c7fe45cf4b819c5991fe208aaa96edf142730f1d)"
	.section	".note.GNU-stack","",@progbits
	.addrsig
	.addrsig_sym __hip_cuid_12a18c1f8f53bf52
	.amdgpu_metadata
---
amdhsa.kernels:
  - .agpr_count:     0
    .args:
      - .actual_access:  read_only
        .address_space:  global
        .offset:         0
        .size:           8
        .value_kind:     global_buffer
      - .offset:         8
        .size:           8
        .value_kind:     by_value
      - .actual_access:  read_only
        .address_space:  global
        .offset:         16
        .size:           8
        .value_kind:     global_buffer
      - .actual_access:  read_only
        .address_space:  global
        .offset:         24
        .size:           8
        .value_kind:     global_buffer
      - .actual_access:  read_only
        .address_space:  global
        .offset:         32
        .size:           8
        .value_kind:     global_buffer
      - .offset:         40
        .size:           8
        .value_kind:     by_value
      - .actual_access:  read_only
        .address_space:  global
        .offset:         48
        .size:           8
        .value_kind:     global_buffer
      - .actual_access:  read_only
        .address_space:  global
        .offset:         56
        .size:           8
        .value_kind:     global_buffer
      - .offset:         64
        .size:           4
        .value_kind:     by_value
      - .actual_access:  read_only
        .address_space:  global
        .offset:         72
        .size:           8
        .value_kind:     global_buffer
      - .actual_access:  read_only
        .address_space:  global
        .offset:         80
        .size:           8
        .value_kind:     global_buffer
      - .actual_access:  read_only
        .address_space:  global
        .offset:         88
        .size:           8
        .value_kind:     global_buffer
      - .actual_access:  write_only
        .address_space:  global
        .offset:         96
        .size:           8
        .value_kind:     global_buffer
    .group_segment_fixed_size: 0
    .kernarg_segment_align: 8
    .kernarg_segment_size: 104
    .language:       OpenCL C
    .language_version:
      - 2
      - 0
    .max_flat_workgroup_size: 119
    .name:           fft_rtc_fwd_len272_factors_16_17_wgs_119_tpt_17_halfLds_half_op_CI_CI_sbrr_dirReg
    .private_segment_fixed_size: 0
    .sgpr_count:     38
    .sgpr_spill_count: 0
    .symbol:         fft_rtc_fwd_len272_factors_16_17_wgs_119_tpt_17_halfLds_half_op_CI_CI_sbrr_dirReg.kd
    .uniform_work_group_size: 1
    .uses_dynamic_stack: false
    .vgpr_count:     198
    .vgpr_spill_count: 0
    .wavefront_size: 64
amdhsa.target:   amdgcn-amd-amdhsa--gfx950
amdhsa.version:
  - 1
  - 2
...

	.end_amdgpu_metadata
